;; amdgpu-corpus repo=ROCm/rocFFT kind=compiled arch=gfx906 opt=O3
	.text
	.amdgcn_target "amdgcn-amd-amdhsa--gfx906"
	.amdhsa_code_object_version 6
	.protected	fft_rtc_fwd_len242_factors_11_2_11_wgs_110_tpt_22_sp_ip_CI_sbrr_dirReg ; -- Begin function fft_rtc_fwd_len242_factors_11_2_11_wgs_110_tpt_22_sp_ip_CI_sbrr_dirReg
	.globl	fft_rtc_fwd_len242_factors_11_2_11_wgs_110_tpt_22_sp_ip_CI_sbrr_dirReg
	.p2align	8
	.type	fft_rtc_fwd_len242_factors_11_2_11_wgs_110_tpt_22_sp_ip_CI_sbrr_dirReg,@function
fft_rtc_fwd_len242_factors_11_2_11_wgs_110_tpt_22_sp_ip_CI_sbrr_dirReg: ; @fft_rtc_fwd_len242_factors_11_2_11_wgs_110_tpt_22_sp_ip_CI_sbrr_dirReg
; %bb.0:
	s_load_dwordx2 s[2:3], s[4:5], 0x18
	s_load_dwordx4 s[8:11], s[4:5], 0x0
	s_load_dwordx2 s[14:15], s[4:5], 0x50
	v_mul_u32_u24_e32 v1, 0xba3, v0
	v_lshrrev_b32_e32 v1, 16, v1
	s_waitcnt lgkmcnt(0)
	s_load_dwordx2 s[12:13], s[2:3], 0x0
	v_mad_u64_u32 v[1:2], s[0:1], s6, 5, v[1:2]
	v_mov_b32_e32 v5, 0
	v_cmp_lt_u64_e64 s[0:1], s[10:11], 2
	v_mov_b32_e32 v2, v5
	v_mov_b32_e32 v3, 0
	;; [unrolled: 1-line block ×3, first 2 shown]
	s_and_b64 vcc, exec, s[0:1]
	v_mov_b32_e32 v4, 0
	v_mov_b32_e32 v9, v1
	s_cbranch_vccnz .LBB0_8
; %bb.1:
	s_load_dwordx2 s[0:1], s[4:5], 0x10
	s_add_u32 s6, s2, 8
	s_addc_u32 s7, s3, 0
	v_mov_b32_e32 v3, 0
	v_mov_b32_e32 v8, v2
	s_waitcnt lgkmcnt(0)
	s_add_u32 s18, s0, 8
	s_mov_b64 s[16:17], 1
	v_mov_b32_e32 v4, 0
	s_addc_u32 s19, s1, 0
	v_mov_b32_e32 v7, v1
.LBB0_2:                                ; =>This Inner Loop Header: Depth=1
	s_load_dwordx2 s[20:21], s[18:19], 0x0
                                        ; implicit-def: $vgpr9_vgpr10
	s_waitcnt lgkmcnt(0)
	v_or_b32_e32 v6, s21, v8
	v_cmp_ne_u64_e32 vcc, 0, v[5:6]
	s_and_saveexec_b64 s[0:1], vcc
	s_xor_b64 s[22:23], exec, s[0:1]
	s_cbranch_execz .LBB0_4
; %bb.3:                                ;   in Loop: Header=BB0_2 Depth=1
	v_cvt_f32_u32_e32 v2, s20
	v_cvt_f32_u32_e32 v6, s21
	s_sub_u32 s0, 0, s20
	s_subb_u32 s1, 0, s21
	v_mac_f32_e32 v2, 0x4f800000, v6
	v_rcp_f32_e32 v2, v2
	v_mul_f32_e32 v2, 0x5f7ffffc, v2
	v_mul_f32_e32 v6, 0x2f800000, v2
	v_trunc_f32_e32 v6, v6
	v_mac_f32_e32 v2, 0xcf800000, v6
	v_cvt_u32_f32_e32 v6, v6
	v_cvt_u32_f32_e32 v2, v2
	v_mul_lo_u32 v9, s0, v6
	v_mul_hi_u32 v10, s0, v2
	v_mul_lo_u32 v12, s1, v2
	v_mul_lo_u32 v11, s0, v2
	v_add_u32_e32 v9, v10, v9
	v_add_u32_e32 v9, v9, v12
	v_mul_hi_u32 v10, v2, v11
	v_mul_lo_u32 v12, v2, v9
	v_mul_hi_u32 v14, v2, v9
	v_mul_hi_u32 v13, v6, v11
	v_mul_lo_u32 v11, v6, v11
	v_mul_hi_u32 v15, v6, v9
	v_add_co_u32_e32 v10, vcc, v10, v12
	v_addc_co_u32_e32 v12, vcc, 0, v14, vcc
	v_mul_lo_u32 v9, v6, v9
	v_add_co_u32_e32 v10, vcc, v10, v11
	v_addc_co_u32_e32 v10, vcc, v12, v13, vcc
	v_addc_co_u32_e32 v11, vcc, 0, v15, vcc
	v_add_co_u32_e32 v9, vcc, v10, v9
	v_addc_co_u32_e32 v10, vcc, 0, v11, vcc
	v_add_co_u32_e32 v2, vcc, v2, v9
	v_addc_co_u32_e32 v6, vcc, v6, v10, vcc
	v_mul_lo_u32 v9, s0, v6
	v_mul_hi_u32 v10, s0, v2
	v_mul_lo_u32 v11, s1, v2
	v_mul_lo_u32 v12, s0, v2
	v_add_u32_e32 v9, v10, v9
	v_add_u32_e32 v9, v9, v11
	v_mul_lo_u32 v13, v2, v9
	v_mul_hi_u32 v14, v2, v12
	v_mul_hi_u32 v15, v2, v9
	;; [unrolled: 1-line block ×3, first 2 shown]
	v_mul_lo_u32 v12, v6, v12
	v_mul_hi_u32 v10, v6, v9
	v_add_co_u32_e32 v13, vcc, v14, v13
	v_addc_co_u32_e32 v14, vcc, 0, v15, vcc
	v_mul_lo_u32 v9, v6, v9
	v_add_co_u32_e32 v12, vcc, v13, v12
	v_addc_co_u32_e32 v11, vcc, v14, v11, vcc
	v_addc_co_u32_e32 v10, vcc, 0, v10, vcc
	v_add_co_u32_e32 v9, vcc, v11, v9
	v_addc_co_u32_e32 v10, vcc, 0, v10, vcc
	v_add_co_u32_e32 v2, vcc, v2, v9
	v_addc_co_u32_e32 v6, vcc, v6, v10, vcc
	v_mad_u64_u32 v[9:10], s[0:1], v7, v6, 0
	v_mul_hi_u32 v11, v7, v2
	v_add_co_u32_e32 v13, vcc, v11, v9
	v_addc_co_u32_e32 v14, vcc, 0, v10, vcc
	v_mad_u64_u32 v[9:10], s[0:1], v8, v2, 0
	v_mad_u64_u32 v[11:12], s[0:1], v8, v6, 0
	v_add_co_u32_e32 v2, vcc, v13, v9
	v_addc_co_u32_e32 v2, vcc, v14, v10, vcc
	v_addc_co_u32_e32 v6, vcc, 0, v12, vcc
	v_add_co_u32_e32 v2, vcc, v2, v11
	v_addc_co_u32_e32 v6, vcc, 0, v6, vcc
	v_mul_lo_u32 v11, s21, v2
	v_mul_lo_u32 v12, s20, v6
	v_mad_u64_u32 v[9:10], s[0:1], s20, v2, 0
	v_add3_u32 v10, v10, v12, v11
	v_sub_u32_e32 v11, v8, v10
	v_mov_b32_e32 v12, s21
	v_sub_co_u32_e32 v9, vcc, v7, v9
	v_subb_co_u32_e64 v11, s[0:1], v11, v12, vcc
	v_subrev_co_u32_e64 v12, s[0:1], s20, v9
	v_subbrev_co_u32_e64 v11, s[0:1], 0, v11, s[0:1]
	v_cmp_le_u32_e64 s[0:1], s21, v11
	v_cndmask_b32_e64 v13, 0, -1, s[0:1]
	v_cmp_le_u32_e64 s[0:1], s20, v12
	v_cndmask_b32_e64 v12, 0, -1, s[0:1]
	v_cmp_eq_u32_e64 s[0:1], s21, v11
	v_cndmask_b32_e64 v11, v13, v12, s[0:1]
	v_add_co_u32_e64 v12, s[0:1], 2, v2
	v_addc_co_u32_e64 v13, s[0:1], 0, v6, s[0:1]
	v_add_co_u32_e64 v14, s[0:1], 1, v2
	v_addc_co_u32_e64 v15, s[0:1], 0, v6, s[0:1]
	v_subb_co_u32_e32 v10, vcc, v8, v10, vcc
	v_cmp_ne_u32_e64 s[0:1], 0, v11
	v_cmp_le_u32_e32 vcc, s21, v10
	v_cndmask_b32_e64 v11, v15, v13, s[0:1]
	v_cndmask_b32_e64 v13, 0, -1, vcc
	v_cmp_le_u32_e32 vcc, s20, v9
	v_cndmask_b32_e64 v9, 0, -1, vcc
	v_cmp_eq_u32_e32 vcc, s21, v10
	v_cndmask_b32_e32 v9, v13, v9, vcc
	v_cmp_ne_u32_e32 vcc, 0, v9
	v_cndmask_b32_e32 v10, v6, v11, vcc
	v_cndmask_b32_e64 v6, v14, v12, s[0:1]
	v_cndmask_b32_e32 v9, v2, v6, vcc
.LBB0_4:                                ;   in Loop: Header=BB0_2 Depth=1
	s_andn2_saveexec_b64 s[0:1], s[22:23]
	s_cbranch_execz .LBB0_6
; %bb.5:                                ;   in Loop: Header=BB0_2 Depth=1
	v_cvt_f32_u32_e32 v2, s20
	s_sub_i32 s22, 0, s20
	v_rcp_iflag_f32_e32 v2, v2
	v_mul_f32_e32 v2, 0x4f7ffffe, v2
	v_cvt_u32_f32_e32 v2, v2
	v_mul_lo_u32 v6, s22, v2
	v_mul_hi_u32 v6, v2, v6
	v_add_u32_e32 v2, v2, v6
	v_mul_hi_u32 v2, v7, v2
	v_mul_lo_u32 v6, v2, s20
	v_add_u32_e32 v9, 1, v2
	v_sub_u32_e32 v6, v7, v6
	v_subrev_u32_e32 v10, s20, v6
	v_cmp_le_u32_e32 vcc, s20, v6
	v_cndmask_b32_e32 v6, v6, v10, vcc
	v_cndmask_b32_e32 v2, v2, v9, vcc
	v_add_u32_e32 v9, 1, v2
	v_cmp_le_u32_e32 vcc, s20, v6
	v_cndmask_b32_e32 v9, v2, v9, vcc
	v_mov_b32_e32 v10, v5
.LBB0_6:                                ;   in Loop: Header=BB0_2 Depth=1
	s_or_b64 exec, exec, s[0:1]
	v_mul_lo_u32 v2, v10, s20
	v_mul_lo_u32 v6, v9, s21
	v_mad_u64_u32 v[11:12], s[0:1], v9, s20, 0
	s_load_dwordx2 s[0:1], s[6:7], 0x0
	s_add_u32 s16, s16, 1
	v_add3_u32 v2, v12, v6, v2
	v_sub_co_u32_e32 v6, vcc, v7, v11
	v_subb_co_u32_e32 v2, vcc, v8, v2, vcc
	s_waitcnt lgkmcnt(0)
	v_mul_lo_u32 v2, s0, v2
	v_mul_lo_u32 v7, s1, v6
	v_mad_u64_u32 v[3:4], s[0:1], s0, v6, v[3:4]
	s_addc_u32 s17, s17, 0
	s_add_u32 s6, s6, 8
	v_add3_u32 v4, v7, v4, v2
	v_mov_b32_e32 v6, s10
	v_mov_b32_e32 v7, s11
	s_addc_u32 s7, s7, 0
	v_cmp_ge_u64_e32 vcc, s[16:17], v[6:7]
	s_add_u32 s18, s18, 8
	s_addc_u32 s19, s19, 0
	s_cbranch_vccnz .LBB0_8
; %bb.7:                                ;   in Loop: Header=BB0_2 Depth=1
	v_mov_b32_e32 v7, v9
	v_mov_b32_e32 v8, v10
	s_branch .LBB0_2
.LBB0_8:
	s_lshl_b64 s[0:1], s[10:11], 3
	s_add_u32 s0, s2, s0
	s_addc_u32 s1, s3, s1
	s_load_dwordx2 s[2:3], s[0:1], 0x0
	s_load_dwordx2 s[6:7], s[4:5], 0x20
                                        ; implicit-def: $sgpr4_sgpr5
                                        ; implicit-def: $vgpr33
                                        ; implicit-def: $vgpr34
                                        ; implicit-def: $vgpr30
	s_waitcnt lgkmcnt(0)
	v_mad_u64_u32 v[2:3], s[0:1], s2, v9, v[3:4]
	s_mov_b32 s0, 0xba2e8bb
	v_mul_hi_u32 v4, v0, s0
	v_mul_lo_u32 v5, s2, v10
	v_mul_lo_u32 v6, s3, v9
	v_cmp_gt_u64_e32 vcc, s[6:7], v[9:10]
	v_mul_u32_u24_e32 v4, 22, v4
	v_cmp_le_u64_e64 s[0:1], s[6:7], v[9:10]
	v_sub_u32_e32 v29, v0, v4
	v_add3_u32 v3, v6, v3, v5
	v_add_u32_e32 v32, 22, v29
	v_add_u32_e32 v31, 44, v29
                                        ; implicit-def: $sgpr6
	s_and_saveexec_b64 s[2:3], s[0:1]
	s_xor_b64 s[0:1], exec, s[2:3]
; %bb.9:
	v_add_u32_e32 v32, 22, v29
	v_add_u32_e32 v31, 44, v29
	v_add_u32_e32 v33, 0x42, v29
	v_add_u32_e32 v34, 0x58, v29
	v_add_u32_e32 v30, 0x6e, v29
	s_mov_b32 s6, 0
	s_mov_b64 s[4:5], 0
; %bb.10:
	s_or_saveexec_b64 s[2:3], s[0:1]
	v_lshlrev_b64 v[8:9], 3, v[2:3]
	v_mov_b32_e32 v4, s4
	v_mov_b32_e32 v28, s6
	;; [unrolled: 1-line block ×3, first 2 shown]
                                        ; implicit-def: $vgpr25
                                        ; implicit-def: $vgpr21
                                        ; implicit-def: $vgpr17
                                        ; implicit-def: $vgpr13
                                        ; implicit-def: $vgpr7
                                        ; implicit-def: $vgpr27
                                        ; implicit-def: $vgpr23
                                        ; implicit-def: $vgpr19
                                        ; implicit-def: $vgpr15
                                        ; implicit-def: $vgpr11
	s_xor_b64 exec, exec, s[2:3]
	s_cbranch_execz .LBB0_12
; %bb.11:
	v_mad_u64_u32 v[2:3], s[0:1], s12, v29, 0
	v_add_u32_e32 v33, 0x42, v29
	v_add_u32_e32 v34, 0x58, v29
	v_mov_b32_e32 v0, v3
	v_mad_u64_u32 v[3:4], s[0:1], s13, v29, v[0:1]
	v_mad_u64_u32 v[4:5], s[0:1], s12, v32, 0
	v_mov_b32_e32 v0, s15
	v_add_co_u32_e64 v15, s[0:1], s14, v8
	v_addc_co_u32_e64 v16, s[0:1], v0, v9, s[0:1]
	v_mov_b32_e32 v0, v5
	v_mad_u64_u32 v[5:6], s[0:1], s13, v32, v[0:1]
	v_mad_u64_u32 v[6:7], s[0:1], s12, v31, 0
	v_lshlrev_b64 v[2:3], 3, v[2:3]
	v_lshlrev_b64 v[4:5], 3, v[4:5]
	v_add_co_u32_e64 v2, s[0:1], v15, v2
	v_mov_b32_e32 v0, v7
	v_addc_co_u32_e64 v3, s[0:1], v16, v3, s[0:1]
	v_mad_u64_u32 v[10:11], s[0:1], s13, v31, v[0:1]
	v_mad_u64_u32 v[11:12], s[0:1], s12, v33, 0
	v_add_co_u32_e64 v35, s[0:1], v15, v4
	v_mov_b32_e32 v7, v10
	v_mov_b32_e32 v0, v12
	v_addc_co_u32_e64 v36, s[0:1], v16, v5, s[0:1]
	v_lshlrev_b64 v[4:5], 3, v[6:7]
	v_mad_u64_u32 v[6:7], s[0:1], s13, v33, v[0:1]
	v_mad_u64_u32 v[13:14], s[0:1], s12, v34, 0
	v_add_co_u32_e64 v37, s[0:1], v15, v4
	v_mov_b32_e32 v12, v6
	v_add_u32_e32 v30, 0x6e, v29
	v_addc_co_u32_e64 v38, s[0:1], v16, v5, s[0:1]
	v_lshlrev_b64 v[4:5], 3, v[11:12]
	v_mov_b32_e32 v0, v14
	v_mad_u64_u32 v[10:11], s[0:1], s12, v30, 0
	v_mad_u64_u32 v[6:7], s[0:1], s13, v34, v[0:1]
	v_add_co_u32_e64 v39, s[0:1], v15, v4
	v_mov_b32_e32 v0, v11
	v_addc_co_u32_e64 v40, s[0:1], v16, v5, s[0:1]
	v_mov_b32_e32 v14, v6
	v_mad_u64_u32 v[6:7], s[0:1], s13, v30, v[0:1]
	v_add_u32_e32 v7, 0x84, v29
	v_lshlrev_b64 v[4:5], 3, v[13:14]
	v_mad_u64_u32 v[12:13], s[0:1], s12, v7, 0
	v_add_co_u32_e64 v41, s[0:1], v15, v4
	v_mov_b32_e32 v0, v13
	v_addc_co_u32_e64 v42, s[0:1], v16, v5, s[0:1]
	v_mov_b32_e32 v11, v6
	v_mad_u64_u32 v[6:7], s[0:1], s13, v7, v[0:1]
	v_add_u32_e32 v7, 0x9a, v29
	v_lshlrev_b64 v[4:5], 3, v[10:11]
	v_mad_u64_u32 v[10:11], s[0:1], s12, v7, 0
	v_add_co_u32_e64 v43, s[0:1], v15, v4
	v_mov_b32_e32 v0, v11
	v_addc_co_u32_e64 v44, s[0:1], v16, v5, s[0:1]
	v_mov_b32_e32 v13, v6
	v_mad_u64_u32 v[6:7], s[0:1], s13, v7, v[0:1]
	v_add_u32_e32 v7, 0xb0, v29
	v_lshlrev_b64 v[4:5], 3, v[12:13]
	v_mad_u64_u32 v[12:13], s[0:1], s12, v7, 0
	v_add_co_u32_e64 v45, s[0:1], v15, v4
	v_mov_b32_e32 v0, v13
	v_addc_co_u32_e64 v46, s[0:1], v16, v5, s[0:1]
	v_mov_b32_e32 v11, v6
	v_mad_u64_u32 v[6:7], s[0:1], s13, v7, v[0:1]
	v_add_u32_e32 v7, 0xc6, v29
	v_lshlrev_b64 v[4:5], 3, v[10:11]
	v_mad_u64_u32 v[10:11], s[0:1], s12, v7, 0
	v_add_co_u32_e64 v47, s[0:1], v15, v4
	v_mov_b32_e32 v0, v11
	v_addc_co_u32_e64 v48, s[0:1], v16, v5, s[0:1]
	v_mov_b32_e32 v13, v6
	v_mad_u64_u32 v[6:7], s[0:1], s13, v7, v[0:1]
	v_add_u32_e32 v7, 0xdc, v29
	v_lshlrev_b64 v[4:5], 3, v[12:13]
	v_mad_u64_u32 v[12:13], s[0:1], s12, v7, 0
	v_add_co_u32_e64 v49, s[0:1], v15, v4
	v_mov_b32_e32 v0, v13
	v_addc_co_u32_e64 v50, s[0:1], v16, v5, s[0:1]
	v_mov_b32_e32 v11, v6
	v_mad_u64_u32 v[6:7], s[0:1], s13, v7, v[0:1]
	v_lshlrev_b64 v[4:5], 3, v[10:11]
	v_mov_b32_e32 v28, v29
	v_add_co_u32_e64 v51, s[0:1], v15, v4
	v_mov_b32_e32 v13, v6
	v_addc_co_u32_e64 v52, s[0:1], v16, v5, s[0:1]
	v_lshlrev_b64 v[4:5], 3, v[12:13]
	v_add_co_u32_e64 v53, s[0:1], v15, v4
	v_addc_co_u32_e64 v54, s[0:1], v16, v5, s[0:1]
	global_load_dwordx2 v[4:5], v[2:3], off
	global_load_dwordx2 v[24:25], v[35:36], off
	;; [unrolled: 1-line block ×11, first 2 shown]
.LBB0_12:
	s_or_b64 exec, exec, s[2:3]
	s_waitcnt vmcnt(9)
	v_add_f32_e32 v0, v24, v4
	v_add_f32_e32 v2, v25, v5
	s_waitcnt vmcnt(8)
	v_add_f32_e32 v0, v20, v0
	v_add_f32_e32 v2, v21, v2
	;; [unrolled: 3-line block ×3, first 2 shown]
	s_mov_b32 s0, 0xcccccccd
	s_waitcnt vmcnt(6)
	v_add_f32_e32 v0, v12, v0
	v_add_f32_e32 v2, v13, v2
	s_waitcnt vmcnt(3)
	v_add_f32_e32 v40, v12, v14
	v_sub_f32_e32 v42, v12, v14
	v_mul_hi_u32 v12, v1, s0
	v_add_f32_e32 v0, v6, v0
	v_add_f32_e32 v2, v7, v2
	;; [unrolled: 1-line block ×6, first 2 shown]
	s_waitcnt vmcnt(2)
	v_add_f32_e32 v0, v18, v0
	v_add_f32_e32 v2, v19, v2
	;; [unrolled: 1-line block ×3, first 2 shown]
	v_sub_f32_e32 v46, v6, v10
	v_lshrrev_b32_e32 v6, 2, v12
	s_waitcnt vmcnt(1)
	v_add_f32_e32 v0, v22, v0
	v_add_f32_e32 v3, v23, v2
	s_waitcnt vmcnt(0)
	v_add_f32_e32 v35, v24, v26
	v_lshl_add_u32 v6, v6, 2, v6
	v_add_f32_e32 v2, v26, v0
	v_add_f32_e32 v3, v27, v3
	;; [unrolled: 1-line block ×3, first 2 shown]
	v_sub_f32_e32 v25, v25, v27
	v_add_f32_e32 v0, v21, v23
	v_sub_f32_e32 v27, v21, v23
	v_add_f32_e32 v23, v16, v18
	v_sub_f32_e32 v38, v16, v18
	v_sub_u32_e32 v1, v1, v6
	v_mul_f32_e32 v6, 0x3f575c64, v35
	v_mul_f32_e32 v10, 0x3ed4b147, v35
	;; [unrolled: 1-line block ×5, first 2 shown]
	v_sub_f32_e32 v24, v24, v26
	v_add_f32_e32 v37, v17, v19
	v_sub_f32_e32 v39, v17, v19
	v_add_f32_e32 v41, v13, v15
	;; [unrolled: 2-line block ×3, first 2 shown]
	v_sub_f32_e32 v47, v7, v11
	v_mov_b32_e32 v7, v6
	v_mov_b32_e32 v11, v10
	;; [unrolled: 1-line block ×5, first 2 shown]
	v_add_f32_e32 v26, v20, v22
	v_sub_f32_e32 v22, v20, v22
	v_fmac_f32_e32 v7, 0x3f0a6770, v25
	v_fmac_f32_e32 v6, 0xbf0a6770, v25
	;; [unrolled: 1-line block ×10, first 2 shown]
	v_mul_f32_e32 v18, 0xbf0a6770, v24
	v_mul_f32_e32 v20, 0xbf68dda4, v24
	;; [unrolled: 1-line block ×5, first 2 shown]
	s_mov_b32 s2, 0x3f575c64
	v_mov_b32_e32 v19, v18
	s_mov_b32 s1, 0x3ed4b147
	v_mov_b32_e32 v21, v20
	;; [unrolled: 2-line block ×5, first 2 shown]
	v_add_f32_e32 v51, v10, v4
	v_mul_f32_e32 v10, 0x3ed4b147, v26
	v_fmac_f32_e32 v19, 0x3f575c64, v36
	v_fma_f32 v18, v36, s2, -v18
	v_fmac_f32_e32 v21, 0x3ed4b147, v36
	v_fma_f32 v20, v36, s1, -v20
	v_fmac_f32_e32 v35, 0xbe11bafb, v36
	v_fma_f32 v25, v36, s0, -v25
	v_fmac_f32_e32 v49, 0xbf27a4f4, v36
	v_fma_f32 v48, v36, s3, -v48
	v_fmac_f32_e32 v50, 0xbf75a155, v36
	v_fma_f32 v24, v36, s4, -v24
	v_add_f32_e32 v7, v7, v4
	v_add_f32_e32 v6, v6, v4
	;; [unrolled: 1-line block ×9, first 2 shown]
	v_mov_b32_e32 v4, v10
	v_mul_f32_e32 v11, 0xbe11bafb, v23
	v_fmac_f32_e32 v4, 0x3f68dda4, v27
	v_mov_b32_e32 v12, v11
	v_add_f32_e32 v4, v4, v7
	v_mul_f32_e32 v7, 0xbf68dda4, v22
	v_fmac_f32_e32 v12, 0x3f7d64f0, v39
	v_add_f32_e32 v19, v19, v5
	v_add_f32_e32 v18, v18, v5
	;; [unrolled: 1-line block ×10, first 2 shown]
	v_mov_b32_e32 v5, v7
	v_add_f32_e32 v4, v12, v4
	v_mul_f32_e32 v12, 0xbf7d64f0, v38
	v_fmac_f32_e32 v5, 0x3ed4b147, v0
	v_mov_b32_e32 v13, v12
	v_add_f32_e32 v5, v5, v19
	v_fmac_f32_e32 v13, 0xbe11bafb, v37
	v_add_f32_e32 v5, v13, v5
	v_mul_f32_e32 v13, 0xbf27a4f4, v40
	v_mov_b32_e32 v14, v13
	v_fmac_f32_e32 v14, 0x3f4178ce, v43
	v_add_f32_e32 v4, v14, v4
	v_mul_f32_e32 v14, 0xbf4178ce, v42
	v_mov_b32_e32 v15, v14
	v_fmac_f32_e32 v15, 0xbf27a4f4, v41
	v_add_f32_e32 v5, v15, v5
	v_mul_f32_e32 v15, 0xbf75a155, v44
	v_fmac_f32_e32 v10, 0xbf68dda4, v27
	v_mov_b32_e32 v16, v15
	v_add_f32_e32 v6, v10, v6
	v_fma_f32 v7, v0, s1, -v7
	v_fmac_f32_e32 v11, 0xbf7d64f0, v39
	v_fmac_f32_e32 v16, 0x3e903f40, v47
	v_add_f32_e32 v7, v7, v18
	v_add_f32_e32 v6, v11, v6
	v_fma_f32 v10, v37, s0, -v12
	v_fmac_f32_e32 v13, 0xbf4178ce, v43
	v_add_f32_e32 v4, v16, v4
	v_mul_f32_e32 v16, 0xbe903f40, v46
	v_add_f32_e32 v7, v10, v7
	v_add_f32_e32 v6, v13, v6
	v_fma_f32 v10, v41, s3, -v14
	v_fmac_f32_e32 v15, 0xbe903f40, v47
	v_add_f32_e32 v7, v10, v7
	v_add_f32_e32 v10, v15, v6
	v_fma_f32 v6, v45, s4, -v16
	v_mul_f32_e32 v12, 0xbf27a4f4, v26
	v_add_f32_e32 v11, v6, v7
	v_mov_b32_e32 v6, v12
	v_mul_f32_e32 v14, 0xbf75a155, v23
	v_fmac_f32_e32 v6, 0x3f4178ce, v27
	v_mov_b32_e32 v15, v14
	v_add_f32_e32 v6, v6, v36
	v_mul_f32_e32 v13, 0xbf4178ce, v22
	v_fmac_f32_e32 v15, 0xbe903f40, v39
	v_mov_b32_e32 v7, v13
	v_add_f32_e32 v6, v15, v6
	v_mul_f32_e32 v15, 0x3e903f40, v38
	v_mov_b32_e32 v17, v16
	v_fmac_f32_e32 v7, 0xbf27a4f4, v0
	v_mov_b32_e32 v16, v15
	v_add_f32_e32 v7, v7, v21
	v_fmac_f32_e32 v16, 0xbf75a155, v37
	v_fmac_f32_e32 v17, 0xbf75a155, v45
	v_add_f32_e32 v7, v16, v7
	v_mul_f32_e32 v16, 0xbe11bafb, v40
	v_add_f32_e32 v5, v17, v5
	v_mov_b32_e32 v17, v16
	v_fmac_f32_e32 v17, 0xbf7d64f0, v43
	v_add_f32_e32 v6, v17, v6
	v_mul_f32_e32 v17, 0x3f7d64f0, v42
	v_mov_b32_e32 v18, v17
	v_fmac_f32_e32 v18, 0xbe11bafb, v41
	v_add_f32_e32 v7, v18, v7
	v_mul_f32_e32 v18, 0x3f575c64, v44
	v_fmac_f32_e32 v12, 0xbf4178ce, v27
	v_mov_b32_e32 v19, v18
	v_add_f32_e32 v12, v12, v51
	v_fma_f32 v13, v0, s3, -v13
	v_fmac_f32_e32 v14, 0x3e903f40, v39
	v_fmac_f32_e32 v19, 0xbf0a6770, v47
	v_add_f32_e32 v13, v13, v20
	v_add_f32_e32 v12, v14, v12
	v_fma_f32 v14, v37, s4, -v15
	v_add_f32_e32 v6, v19, v6
	v_mul_f32_e32 v19, 0x3f0a6770, v46
	v_add_f32_e32 v13, v14, v13
	v_fmac_f32_e32 v16, 0x3f7d64f0, v43
	v_fma_f32 v14, v41, s0, -v17
	v_add_f32_e32 v12, v16, v12
	v_add_f32_e32 v13, v14, v13
	v_fmac_f32_e32 v18, 0x3f0a6770, v47
	v_fma_f32 v14, v45, s2, -v19
	v_mul_f32_e32 v16, 0xbf75a155, v26
	v_add_f32_e32 v12, v18, v12
	v_add_f32_e32 v13, v14, v13
	v_mov_b32_e32 v14, v16
	v_mul_f32_e32 v18, 0x3ed4b147, v23
	v_mov_b32_e32 v21, v19
	v_fmac_f32_e32 v14, 0xbe903f40, v27
	v_mov_b32_e32 v19, v18
	v_add_f32_e32 v14, v14, v52
	v_mul_f32_e32 v17, 0x3e903f40, v22
	v_fmac_f32_e32 v19, 0xbf68dda4, v39
	v_mov_b32_e32 v15, v17
	v_add_f32_e32 v14, v19, v14
	v_mul_f32_e32 v19, 0x3f68dda4, v38
	v_fmac_f32_e32 v15, 0xbf75a155, v0
	v_mov_b32_e32 v20, v19
	v_add_f32_e32 v15, v15, v35
	v_fmac_f32_e32 v20, 0x3ed4b147, v37
	v_fmac_f32_e32 v21, 0x3f575c64, v45
	v_add_f32_e32 v15, v20, v15
	v_mul_f32_e32 v20, 0x3f575c64, v40
	v_add_f32_e32 v7, v21, v7
	v_mov_b32_e32 v21, v20
	v_fmac_f32_e32 v21, 0x3f0a6770, v43
	v_add_f32_e32 v14, v21, v14
	v_mul_f32_e32 v21, 0xbf0a6770, v42
	v_mov_b32_e32 v35, v21
	v_fmac_f32_e32 v35, 0x3f575c64, v41
	v_add_f32_e32 v15, v35, v15
	v_mul_f32_e32 v35, 0xbf27a4f4, v44
	v_fmac_f32_e32 v16, 0x3e903f40, v27
	v_mov_b32_e32 v36, v35
	v_add_f32_e32 v16, v16, v53
	v_fma_f32 v17, v0, s4, -v17
	v_fmac_f32_e32 v18, 0x3f68dda4, v39
	v_fmac_f32_e32 v36, 0x3f4178ce, v47
	v_add_f32_e32 v17, v17, v25
	v_add_f32_e32 v16, v18, v16
	v_fma_f32 v18, v37, s1, -v19
	v_add_f32_e32 v14, v36, v14
	v_mul_f32_e32 v36, 0xbf4178ce, v46
	v_add_f32_e32 v17, v18, v17
	v_fmac_f32_e32 v20, 0xbf0a6770, v43
	v_fma_f32 v18, v41, s2, -v21
	v_add_f32_e32 v16, v20, v16
	v_add_f32_e32 v17, v18, v17
	v_fma_f32 v18, v45, s3, -v36
	v_mul_f32_e32 v20, 0xbe11bafb, v26
	v_fmac_f32_e32 v35, 0xbf4178ce, v47
	v_add_f32_e32 v17, v18, v17
	v_mov_b32_e32 v18, v20
	v_mul_f32_e32 v25, 0x3f575c64, v23
	v_add_f32_e32 v16, v35, v16
	v_fmac_f32_e32 v18, 0xbf7d64f0, v27
	v_mov_b32_e32 v35, v25
	v_add_f32_e32 v18, v18, v54
	v_mul_f32_e32 v21, 0x3f7d64f0, v22
	v_fmac_f32_e32 v35, 0x3f0a6770, v39
	v_mov_b32_e32 v19, v21
	v_add_f32_e32 v18, v35, v18
	v_mul_f32_e32 v35, 0xbf0a6770, v38
	v_mov_b32_e32 v51, v36
	v_fmac_f32_e32 v19, 0xbe11bafb, v0
	v_mov_b32_e32 v36, v35
	v_add_f32_e32 v19, v19, v49
	v_fmac_f32_e32 v36, 0x3f575c64, v37
	v_add_f32_e32 v19, v36, v19
	v_mul_f32_e32 v36, 0xbf75a155, v40
	v_mov_b32_e32 v49, v36
	v_fmac_f32_e32 v49, 0x3e903f40, v43
	v_fmac_f32_e32 v51, 0xbf27a4f4, v45
	v_add_f32_e32 v18, v49, v18
	v_mul_f32_e32 v49, 0xbe903f40, v42
	v_add_f32_e32 v15, v51, v15
	v_mov_b32_e32 v51, v49
	v_fmac_f32_e32 v51, 0xbf75a155, v41
	v_add_f32_e32 v19, v51, v19
	v_mul_f32_e32 v51, 0x3ed4b147, v44
	v_fmac_f32_e32 v20, 0x3f7d64f0, v27
	v_mov_b32_e32 v52, v51
	v_add_f32_e32 v20, v20, v55
	v_fma_f32 v21, v0, s0, -v21
	v_fmac_f32_e32 v25, 0xbf0a6770, v39
	v_fmac_f32_e32 v52, 0xbf68dda4, v47
	v_add_f32_e32 v21, v21, v48
	v_add_f32_e32 v20, v25, v20
	v_fma_f32 v25, v37, s2, -v35
	v_add_f32_e32 v18, v52, v18
	v_mul_f32_e32 v52, 0x3f68dda4, v46
	v_add_f32_e32 v21, v25, v21
	v_fma_f32 v25, v41, s4, -v49
	v_add_f32_e32 v21, v25, v21
	v_fma_f32 v25, v45, s1, -v52
	v_fmac_f32_e32 v36, 0xbe903f40, v43
	v_add_f32_e32 v21, v25, v21
	v_mul_f32_e32 v25, 0x3f575c64, v26
	v_add_f32_e32 v20, v36, v20
	v_mov_b32_e32 v26, v25
	v_mul_f32_e32 v36, 0xbf27a4f4, v23
	v_fmac_f32_e32 v26, 0xbf0a6770, v27
	v_mov_b32_e32 v23, v36
	v_add_f32_e32 v26, v26, v56
	v_mul_f32_e32 v35, 0x3f0a6770, v22
	v_fmac_f32_e32 v23, 0x3f4178ce, v39
	v_mov_b32_e32 v22, v35
	v_add_f32_e32 v23, v23, v26
	;; [unrolled: 4-line block ×3, first 2 shown]
	v_fmac_f32_e32 v38, 0xbf27a4f4, v37
	v_add_f32_e32 v22, v38, v22
	v_mul_f32_e32 v38, 0x3ed4b147, v40
	v_mov_b32_e32 v40, v38
	v_fmac_f32_e32 v40, 0xbf68dda4, v43
	v_add_f32_e32 v23, v40, v23
	v_mul_f32_e32 v40, 0x3f68dda4, v42
	v_mov_b32_e32 v42, v40
	v_fmac_f32_e32 v25, 0x3f0a6770, v27
	v_fmac_f32_e32 v42, 0x3ed4b147, v41
	v_mul_f32_e32 v44, 0xbe11bafb, v44
	v_add_f32_e32 v25, v25, v57
	v_fma_f32 v0, v0, s2, -v35
	v_fmac_f32_e32 v36, 0xbf4178ce, v39
	v_add_f32_e32 v42, v42, v22
	v_mov_b32_e32 v22, v44
	v_add_f32_e32 v0, v0, v24
	v_add_f32_e32 v24, v36, v25
	v_fma_f32 v25, v37, s3, -v26
	v_fmac_f32_e32 v38, 0x3f68dda4, v43
	v_fmac_f32_e32 v22, 0x3f7d64f0, v47
	v_mul_f32_e32 v46, 0xbf7d64f0, v46
	v_add_f32_e32 v0, v25, v0
	v_add_f32_e32 v24, v38, v24
	v_fma_f32 v25, v41, s1, -v40
	v_fmac_f32_e32 v44, 0xbf7d64f0, v47
	v_mul_u32_u24_e32 v35, 0xf2, v1
	v_mov_b32_e32 v53, v52
	v_add_f32_e32 v22, v22, v23
	v_mov_b32_e32 v23, v46
	v_add_f32_e32 v25, v25, v0
	v_add_f32_e32 v0, v44, v24
	v_fma_f32 v1, v45, s0, -v46
	v_lshl_add_u32 v24, v35, 3, 0
	s_movk_i32 s0, 0x58
	v_fmac_f32_e32 v53, 0x3ed4b147, v45
	v_fmac_f32_e32 v51, 0x3f68dda4, v47
	;; [unrolled: 1-line block ×3, first 2 shown]
	v_add_f32_e32 v1, v1, v25
	v_mad_u32_u24 v25, v29, s0, v24
	s_movk_i32 s0, 0xffb0
	v_add_f32_e32 v19, v53, v19
	v_add_f32_e32 v20, v51, v20
	v_add_f32_e32 v23, v23, v42
	v_lshl_add_u32 v38, v29, 3, v24
	v_mad_i32_i24 v26, v29, s0, v25
	v_lshl_add_u32 v37, v33, 3, v24
	ds_write2_b64 v25, v[2:3], v[4:5] offset1:1
	ds_write2_b64 v25, v[6:7], v[14:15] offset0:2 offset1:3
	ds_write2_b64 v25, v[18:19], v[22:23] offset0:4 offset1:5
	;; [unrolled: 1-line block ×4, first 2 shown]
	ds_write_b64 v25, v[10:11] offset:80
	s_waitcnt lgkmcnt(0)
	s_barrier
	ds_read_b64 v[22:23], v38
	ds_read2_b64 v[0:3], v26 offset0:121 offset1:143
	v_lshl_add_u32 v39, v32, 3, v24
	v_lshl_add_u32 v40, v31, 3, v24
	v_lshl_add_u32 v36, v34, 3, v24
	ds_read_b64 v[16:17], v37
	ds_read_b64 v[14:15], v36
	;; [unrolled: 1-line block ×4, first 2 shown]
	ds_read_b64 v[24:25], v26 offset:1672
	ds_read2_b64 v[4:7], v26 offset0:165 offset1:187
	v_cmp_gt_u32_e64 s[0:1], 11, v29
	v_lshlrev_b32_e32 v27, 3, v30
	v_lshlrev_b32_e32 v35, 3, v35
                                        ; implicit-def: $vgpr13
	s_and_saveexec_b64 s[2:3], s[0:1]
	s_cbranch_execz .LBB0_14
; %bb.13:
	v_add3_u32 v10, 0, v27, v35
	ds_read_b64 v[10:11], v10
	ds_read_b64 v[12:13], v26 offset:1848
.LBB0_14:
	s_or_b64 exec, exec, s[2:3]
	v_add_u32_e32 v41, -11, v29
	v_cndmask_b32_e64 v41, v41, v29, s[0:1]
	v_mov_b32_e32 v42, 0
	v_lshlrev_b64 v[42:43], 3, v[41:42]
	v_mov_b32_e32 v44, s9
	v_add_co_u32_e64 v42, s[2:3], s8, v42
	s_movk_i32 s4, 0x75
	v_addc_co_u32_e64 v43, s[2:3], v44, v43, s[2:3]
	v_mul_lo_u16_sdwa v44, v32, s4 dst_sel:DWORD dst_unused:UNUSED_PAD src0_sel:BYTE_0 src1_sel:DWORD
	v_sub_u16_sdwa v45, v32, v44 dst_sel:DWORD dst_unused:UNUSED_PAD src0_sel:DWORD src1_sel:BYTE_1
	v_lshrrev_b16_e32 v45, 1, v45
	v_and_b32_e32 v45, 0x7f, v45
	v_add_u16_sdwa v44, v45, v44 dst_sel:DWORD dst_unused:UNUSED_PAD src0_sel:DWORD src1_sel:BYTE_1
	v_lshrrev_b16_e32 v50, 3, v44
	v_mul_lo_u16_e32 v44, 11, v50
	v_sub_u16_e32 v44, v32, v44
	v_mov_b32_e32 v32, 3
	v_lshlrev_b32_sdwa v51, v32, v44 dst_sel:DWORD dst_unused:UNUSED_PAD src0_sel:DWORD src1_sel:BYTE_0
	v_mul_lo_u16_sdwa v44, v31, s4 dst_sel:DWORD dst_unused:UNUSED_PAD src0_sel:BYTE_0 src1_sel:DWORD
	v_sub_u16_sdwa v45, v31, v44 dst_sel:DWORD dst_unused:UNUSED_PAD src0_sel:DWORD src1_sel:BYTE_1
	v_lshrrev_b16_e32 v45, 1, v45
	v_and_b32_e32 v45, 0x7f, v45
	v_add_u16_sdwa v44, v45, v44 dst_sel:DWORD dst_unused:UNUSED_PAD src0_sel:DWORD src1_sel:BYTE_1
	v_lshrrev_b16_e32 v52, 3, v44
	v_mul_lo_u16_e32 v44, 11, v52
	v_sub_u16_e32 v31, v31, v44
	v_mul_lo_u16_sdwa v44, v33, s4 dst_sel:DWORD dst_unused:UNUSED_PAD src0_sel:BYTE_0 src1_sel:DWORD
	v_sub_u16_sdwa v45, v33, v44 dst_sel:DWORD dst_unused:UNUSED_PAD src0_sel:DWORD src1_sel:BYTE_1
	v_lshrrev_b16_e32 v45, 1, v45
	v_and_b32_e32 v45, 0x7f, v45
	v_add_u16_sdwa v44, v45, v44 dst_sel:DWORD dst_unused:UNUSED_PAD src0_sel:DWORD src1_sel:BYTE_1
	v_lshrrev_b16_e32 v53, 3, v44
	v_mul_lo_u16_e32 v44, 11, v53
	v_sub_u16_e32 v33, v33, v44
	v_lshlrev_b32_sdwa v54, v32, v33 dst_sel:DWORD dst_unused:UNUSED_PAD src0_sel:DWORD src1_sel:BYTE_0
	v_mul_lo_u16_sdwa v33, v34, s4 dst_sel:DWORD dst_unused:UNUSED_PAD src0_sel:BYTE_0 src1_sel:DWORD
	v_sub_u16_sdwa v55, v34, v33 dst_sel:DWORD dst_unused:UNUSED_PAD src0_sel:DWORD src1_sel:BYTE_1
	v_lshrrev_b16_e32 v55, 1, v55
	v_and_b32_e32 v55, 0x7f, v55
	v_add_u16_sdwa v33, v55, v33 dst_sel:DWORD dst_unused:UNUSED_PAD src0_sel:DWORD src1_sel:BYTE_1
	v_lshrrev_b16_e32 v55, 3, v33
	v_mul_lo_u16_e32 v33, 11, v55
	v_sub_u16_e32 v33, v34, v33
	v_lshlrev_b32_sdwa v56, v32, v33 dst_sel:DWORD dst_unused:UNUSED_PAD src0_sel:DWORD src1_sel:BYTE_0
	v_lshlrev_b32_sdwa v31, v32, v31 dst_sel:DWORD dst_unused:UNUSED_PAD src0_sel:DWORD src1_sel:BYTE_0
	global_load_dwordx2 v[42:43], v[42:43], off
	s_nop 0
	global_load_dwordx2 v[44:45], v51, s[8:9]
	global_load_dwordx2 v[46:47], v31, s[8:9]
	;; [unrolled: 1-line block ×4, first 2 shown]
	v_cmp_lt_u32_e64 s[2:3], 10, v29
	s_movk_i32 s5, 0xb0
	s_waitcnt vmcnt(0) lgkmcnt(0)
	s_barrier
	v_mul_f32_e32 v57, v43, v1
	v_mul_f32_e32 v43, v43, v0
	;; [unrolled: 1-line block ×4, first 2 shown]
	v_fma_f32 v24, v33, v24, -v58
	v_fmac_f32_e32 v34, v33, v25
	v_mov_b32_e32 v33, 0xb0
	v_fma_f32 v0, v42, v0, -v57
	v_fmac_f32_e32 v43, v42, v1
	v_cndmask_b32_e64 v33, 0, v33, s[2:3]
	v_sub_f32_e32 v0, v22, v0
	v_sub_f32_e32 v1, v23, v43
	v_mul_f32_e32 v42, v45, v3
	v_mul_f32_e32 v43, v45, v2
	v_sub_f32_e32 v25, v15, v34
	v_add_u32_e32 v33, 0, v33
	v_lshlrev_b32_e32 v34, 3, v41
	v_fma_f32 v22, v22, 2.0, -v0
	v_fma_f32 v23, v23, 2.0, -v1
	v_fma_f32 v2, v44, v2, -v42
	v_fmac_f32_e32 v43, v44, v3
	v_add3_u32 v33, v33, v34, v35
	v_mul_f32_e32 v45, v47, v5
	v_mul_f32_e32 v47, v47, v4
	v_sub_f32_e32 v2, v20, v2
	v_sub_f32_e32 v3, v21, v43
	ds_write2_b64 v33, v[22:23], v[0:1] offset1:11
	v_mad_u32_u24 v0, v50, s5, 0
	v_fma_f32 v4, v46, v4, -v45
	v_fmac_f32_e32 v47, v46, v5
	v_fma_f32 v20, v20, 2.0, -v2
	v_fma_f32 v21, v21, 2.0, -v3
	v_add3_u32 v0, v0, v51, v35
	v_mul_f32_e32 v57, v49, v7
	v_mul_f32_e32 v49, v49, v6
	v_sub_f32_e32 v4, v18, v4
	v_sub_f32_e32 v5, v19, v47
	ds_write2_b64 v0, v[20:21], v[2:3] offset1:11
	v_mad_u32_u24 v0, v52, s5, 0
	v_fma_f32 v6, v48, v6, -v57
	v_fmac_f32_e32 v49, v48, v7
	v_fma_f32 v18, v18, 2.0, -v4
	v_fma_f32 v19, v19, 2.0, -v5
	v_add3_u32 v0, v0, v31, v35
	v_sub_f32_e32 v6, v16, v6
	v_sub_f32_e32 v7, v17, v49
	ds_write2_b64 v0, v[18:19], v[4:5] offset1:11
	v_mad_u32_u24 v0, v53, s5, 0
	v_fma_f32 v16, v16, 2.0, -v6
	v_fma_f32 v17, v17, 2.0, -v7
	v_add3_u32 v0, v0, v54, v35
	v_sub_f32_e32 v24, v14, v24
	ds_write2_b64 v0, v[16:17], v[6:7] offset1:11
	v_mad_u32_u24 v0, v55, s5, 0
	v_fma_f32 v14, v14, 2.0, -v24
	v_fma_f32 v15, v15, 2.0, -v25
	v_add3_u32 v0, v0, v56, v35
	ds_write2_b64 v0, v[14:15], v[24:25] offset1:11
	s_and_saveexec_b64 s[2:3], s[0:1]
	s_cbranch_execz .LBB0_16
; %bb.15:
	v_mul_lo_u16_sdwa v0, v30, s4 dst_sel:DWORD dst_unused:UNUSED_PAD src0_sel:BYTE_0 src1_sel:DWORD
	v_sub_u16_sdwa v1, v30, v0 dst_sel:DWORD dst_unused:UNUSED_PAD src0_sel:DWORD src1_sel:BYTE_1
	v_lshrrev_b16_e32 v1, 1, v1
	v_and_b32_e32 v1, 0x7f, v1
	v_add_u16_sdwa v0, v1, v0 dst_sel:DWORD dst_unused:UNUSED_PAD src0_sel:DWORD src1_sel:BYTE_1
	v_lshrrev_b16_e32 v0, 3, v0
	v_mul_lo_u16_e32 v0, 11, v0
	v_sub_u16_e32 v0, v30, v0
	v_lshlrev_b32_sdwa v2, v32, v0 dst_sel:DWORD dst_unused:UNUSED_PAD src0_sel:DWORD src1_sel:BYTE_0
	global_load_dwordx2 v[0:1], v2, s[8:9]
	v_add3_u32 v4, 0, v2, v35
	s_waitcnt vmcnt(0)
	v_mul_f32_e32 v2, v12, v1
	v_mul_f32_e32 v1, v13, v1
	v_fmac_f32_e32 v2, v13, v0
	v_fma_f32 v0, v12, v0, -v1
	v_sub_f32_e32 v1, v11, v2
	v_sub_f32_e32 v0, v10, v0
	v_fma_f32 v3, v11, 2.0, -v1
	v_fma_f32 v2, v10, 2.0, -v0
	ds_write2_b64 v4, v[2:3], v[0:1] offset0:220 offset1:231
.LBB0_16:
	s_or_b64 exec, exec, s[2:3]
	s_waitcnt lgkmcnt(0)
	s_barrier
	s_and_saveexec_b64 s[0:1], vcc
	s_cbranch_execz .LBB0_18
; %bb.17:
	v_mul_u32_u24_e32 v0, 10, v29
	v_lshlrev_b32_e32 v22, 3, v0
	global_load_dwordx4 v[0:3], v22, s[8:9] offset:152
	global_load_dwordx4 v[4:7], v22, s[8:9] offset:88
	;; [unrolled: 1-line block ×5, first 2 shown]
	ds_read_b64 v[33:34], v40
	ds_read_b64 v[39:40], v39
	ds_read_b64 v[41:42], v26 offset:1760
	ds_read_b64 v[43:44], v38
	ds_read2_b64 v[22:25], v26 offset0:176 offset1:198
	ds_read2_b64 v[29:32], v26 offset0:132 offset1:154
	ds_read_b64 v[37:38], v37
	ds_read_b64 v[45:46], v36
	v_add3_u32 v26, 0, v27, v35
	ds_read_b64 v[26:27], v26
	s_mov_b32 s1, 0xbf75a155
	s_mov_b32 s0, 0x3f575c64
	;; [unrolled: 1-line block ×5, first 2 shown]
	s_waitcnt vmcnt(4) lgkmcnt(6)
	v_mul_f32_e32 v35, v2, v42
	s_waitcnt vmcnt(3)
	v_mul_f32_e32 v36, v4, v40
	s_waitcnt lgkmcnt(4)
	v_mul_f32_e32 v47, v0, v25
	v_mul_f32_e32 v48, v6, v34
	s_waitcnt vmcnt(2)
	v_mul_f32_e32 v49, v12, v23
	s_waitcnt vmcnt(1) lgkmcnt(2)
	v_mul_f32_e32 v50, v14, v38
	v_mul_f32_e32 v23, v13, v23
	v_fmac_f32_e32 v36, v5, v39
	v_fmac_f32_e32 v35, v3, v41
	v_mul_f32_e32 v40, v5, v40
	v_mul_f32_e32 v42, v3, v42
	;; [unrolled: 1-line block ×5, first 2 shown]
	s_waitcnt lgkmcnt(1)
	v_mul_f32_e32 v52, v16, v46
	v_mul_f32_e32 v32, v11, v32
	v_fmac_f32_e32 v48, v7, v33
	v_fmac_f32_e32 v47, v1, v24
	;; [unrolled: 1-line block ×4, first 2 shown]
	v_fma_f32 v15, v22, v12, -v23
	v_add_f32_e32 v22, v35, v36
	v_mul_f32_e32 v25, v1, v25
	v_mul_f32_e32 v46, v17, v46
	v_fma_f32 v39, v4, v39, -v40
	v_fma_f32 v33, v6, v33, -v34
	;; [unrolled: 1-line block ×3, first 2 shown]
	v_fmac_f32_e32 v51, v11, v31
	v_fmac_f32_e32 v52, v17, v45
	v_fma_f32 v17, v31, v10, -v32
	v_add_f32_e32 v23, v47, v48
	v_mul_f32_e32 v31, 0x3f575c64, v22
	s_waitcnt vmcnt(0)
	v_mul_f32_e32 v53, v20, v30
	s_waitcnt lgkmcnt(0)
	v_mul_f32_e32 v54, v18, v27
	v_mul_f32_e32 v27, v19, v27
	v_fma_f32 v24, v24, v0, -v25
	v_sub_f32_e32 v12, v39, v34
	v_add_f32_e32 v25, v49, v50
	v_mul_f32_e32 v32, 0x3ed4b147, v23
	v_mov_b32_e32 v0, v31
	v_mul_f32_e32 v30, v21, v30
	v_fma_f32 v14, v14, v37, -v38
	v_fmac_f32_e32 v53, v21, v29
	v_fmac_f32_e32 v54, v19, v26
	v_fma_f32 v18, v18, v26, -v27
	v_sub_f32_e32 v13, v33, v24
	v_add_f32_e32 v26, v51, v52
	v_mul_f32_e32 v37, 0xbe11bafb, v25
	v_mov_b32_e32 v1, v32
	v_fmac_f32_e32 v0, 0x3f0a6770, v12
	v_fma_f32 v16, v16, v45, -v46
	v_fma_f32 v19, v29, v20, -v30
	v_sub_f32_e32 v20, v14, v15
	v_add_f32_e32 v27, v53, v54
	v_mul_f32_e32 v38, 0xbf27a4f4, v26
	v_mov_b32_e32 v2, v37
	v_fmac_f32_e32 v1, 0x3f68dda4, v13
	v_add_f32_e32 v0, v0, v44
	v_sub_f32_e32 v21, v16, v17
	v_sub_f32_e32 v10, v36, v35
	v_mul_f32_e32 v40, 0xbf75a155, v27
	v_mov_b32_e32 v3, v38
	v_fmac_f32_e32 v2, 0x3f7d64f0, v20
	v_add_f32_e32 v0, v0, v1
	v_sub_f32_e32 v29, v18, v19
	v_mul_f32_e32 v41, 0xbf0a6770, v10
	v_mov_b32_e32 v4, v40
	v_fmac_f32_e32 v3, 0x3f4178ce, v21
	v_add_f32_e32 v0, v0, v2
	v_sub_f32_e32 v11, v48, v47
	v_add_f32_e32 v30, v34, v39
	v_mov_b32_e32 v5, v41
	v_fmac_f32_e32 v4, 0x3e903f40, v29
	v_add_f32_e32 v0, v0, v3
	v_mul_f32_e32 v45, 0xbf68dda4, v11
	v_sub_f32_e32 v55, v50, v49
	v_fmac_f32_e32 v5, 0x3f575c64, v30
	v_add_f32_e32 v1, v0, v4
	v_add_f32_e32 v42, v24, v33
	v_mov_b32_e32 v0, v45
	v_mul_f32_e32 v56, 0xbf7d64f0, v55
	v_add_f32_e32 v5, v5, v43
	v_fmac_f32_e32 v0, 0x3ed4b147, v42
	v_add_f32_e32 v46, v15, v14
	v_mov_b32_e32 v2, v56
	v_sub_f32_e32 v58, v52, v51
	v_add_f32_e32 v0, v5, v0
	v_fmac_f32_e32 v2, 0xbe11bafb, v46
	v_mul_f32_e32 v59, 0xbf4178ce, v58
	v_add_f32_e32 v0, v0, v2
	v_add_f32_e32 v57, v17, v16
	v_mov_b32_e32 v2, v59
	v_sub_f32_e32 v61, v54, v53
	v_fmac_f32_e32 v2, 0xbf27a4f4, v57
	v_mul_f32_e32 v62, 0xbe903f40, v61
	v_add_f32_e32 v0, v0, v2
	v_add_f32_e32 v60, v19, v18
	v_mov_b32_e32 v2, v62
	v_fmac_f32_e32 v2, 0xbf75a155, v60
	v_mul_f32_e32 v63, 0xbe903f40, v12
	v_add_f32_e32 v0, v0, v2
	v_mov_b32_e32 v2, v63
	v_mul_f32_e32 v64, 0x3f0a6770, v13
	v_fmac_f32_e32 v2, 0xbf75a155, v22
	v_mov_b32_e32 v3, v64
	v_add_f32_e32 v2, v2, v44
	v_fmac_f32_e32 v3, 0x3f575c64, v23
	v_mul_f32_e32 v65, 0xbf4178ce, v20
	v_add_f32_e32 v2, v2, v3
	v_mov_b32_e32 v3, v65
	v_fmac_f32_e32 v3, 0xbf27a4f4, v25
	v_mul_f32_e32 v66, 0x3f68dda4, v21
	v_add_f32_e32 v2, v2, v3
	v_mov_b32_e32 v3, v66
	v_fmac_f32_e32 v3, 0x3ed4b147, v26
	v_mul_f32_e32 v67, 0xbe903f40, v10
	v_add_f32_e32 v2, v2, v3
	v_fma_f32 v3, v30, s1, -v67
	v_mul_f32_e32 v68, 0x3f0a6770, v11
	v_add_f32_e32 v3, v3, v43
	v_fma_f32 v4, v42, s0, -v68
	;; [unrolled: 3-line block ×4, first 2 shown]
	v_mul_f32_e32 v71, 0xbf7d64f0, v29
	v_add_f32_e32 v4, v3, v4
	v_mov_b32_e32 v3, v71
	v_fmac_f32_e32 v3, 0xbe11bafb, v27
	v_mul_f32_e32 v72, 0xbf7d64f0, v61
	v_add_f32_e32 v3, v2, v3
	v_fma_f32 v2, v60, s3, -v72
	v_mul_f32_e32 v73, 0xbf4178ce, v12
	v_add_f32_e32 v2, v4, v2
	v_mov_b32_e32 v4, v73
	v_mul_f32_e32 v74, 0x3f7d64f0, v13
	v_fmac_f32_e32 v4, 0xbf27a4f4, v22
	v_mov_b32_e32 v5, v74
	v_add_f32_e32 v4, v4, v44
	v_fmac_f32_e32 v5, 0xbe11bafb, v23
	v_mul_f32_e32 v75, 0xbf0a6770, v20
	v_add_f32_e32 v4, v4, v5
	v_mov_b32_e32 v5, v75
	v_fmac_f32_e32 v5, 0x3f575c64, v25
	v_mul_f32_e32 v76, 0xbe903f40, v21
	v_add_f32_e32 v4, v4, v5
	v_mov_b32_e32 v5, v76
	v_fmac_f32_e32 v5, 0xbf75a155, v26
	v_mul_f32_e32 v77, 0xbf4178ce, v10
	v_add_f32_e32 v4, v4, v5
	v_fma_f32 v5, v30, s2, -v77
	v_mul_f32_e32 v78, 0x3f7d64f0, v11
	v_add_f32_e32 v5, v5, v43
	v_fma_f32 v6, v42, s3, -v78
	;; [unrolled: 3-line block ×4, first 2 shown]
	v_mul_f32_e32 v81, 0x3f68dda4, v29
	v_add_f32_e32 v6, v5, v6
	v_mov_b32_e32 v5, v81
	v_fmac_f32_e32 v5, 0x3ed4b147, v27
	v_mul_f32_e32 v82, 0x3f68dda4, v61
	v_add_f32_e32 v5, v4, v5
	v_fma_f32 v4, v60, s4, -v82
	v_mul_f32_e32 v83, 0xbf7d64f0, v12
	v_add_f32_e32 v4, v6, v4
	v_mov_b32_e32 v6, v83
	v_mul_f32_e32 v84, 0x3e903f40, v13
	v_fmac_f32_e32 v6, 0xbe11bafb, v22
	v_mov_b32_e32 v7, v84
	v_add_f32_e32 v6, v6, v44
	v_fmac_f32_e32 v7, 0xbf75a155, v23
	v_mul_f32_e32 v85, 0x3f68dda4, v20
	v_add_f32_e32 v6, v6, v7
	v_mov_b32_e32 v7, v85
	v_fmac_f32_e32 v7, 0x3ed4b147, v25
	v_mul_f32_e32 v86, 0xbf0a6770, v21
	v_add_f32_e32 v6, v6, v7
	v_mov_b32_e32 v7, v86
	v_fmac_f32_e32 v7, 0x3f575c64, v26
	v_mul_f32_e32 v87, 0xbf7d64f0, v10
	v_add_f32_e32 v6, v6, v7
	v_fma_f32 v7, v30, s3, -v87
	v_mul_f32_e32 v88, 0x3e903f40, v11
	v_add_f32_e32 v7, v7, v43
	v_fma_f32 v89, v42, s1, -v88
	v_add_f32_e32 v7, v7, v89
	v_mul_f32_e32 v89, 0x3f68dda4, v55
	v_fma_f32 v90, v46, s4, -v89
	v_add_f32_e32 v7, v7, v90
	v_mul_f32_e32 v90, 0xbf0a6770, v58
	v_fma_f32 v91, v57, s0, -v90
	v_mul_f32_e32 v92, 0xbf4178ce, v29
	v_add_f32_e32 v91, v7, v91
	v_mov_b32_e32 v7, v92
	v_fmac_f32_e32 v7, 0xbf27a4f4, v27
	v_mul_f32_e32 v93, 0xbf4178ce, v61
	v_add_f32_e32 v7, v6, v7
	v_fma_f32 v6, v60, s2, -v93
	v_add_f32_e32 v6, v91, v6
	v_mul_f32_e32 v91, 0xbf68dda4, v12
	v_mov_b32_e32 v94, v91
	v_mul_f32_e32 v95, 0xbf4178ce, v13
	v_fmac_f32_e32 v94, 0x3ed4b147, v22
	v_mov_b32_e32 v96, v95
	v_add_f32_e32 v94, v94, v44
	v_fmac_f32_e32 v96, 0xbf27a4f4, v23
	v_add_f32_e32 v94, v94, v96
	v_mul_f32_e32 v96, 0x3e903f40, v20
	v_mov_b32_e32 v97, v96
	v_fmac_f32_e32 v31, 0xbf0a6770, v12
	v_fmac_f32_e32 v97, 0xbf75a155, v25
	v_fmac_f32_e32 v32, 0xbf68dda4, v13
	v_add_f32_e32 v12, v31, v44
	v_fma_f32 v13, v30, s0, -v41
	v_add_f32_e32 v94, v94, v97
	v_mul_f32_e32 v97, 0x3f7d64f0, v21
	v_add_f32_e32 v12, v12, v32
	v_fmac_f32_e32 v37, 0xbf7d64f0, v20
	v_fmac_f32_e32 v38, 0xbf4178ce, v21
	v_add_f32_e32 v13, v13, v43
	v_fma_f32 v20, v42, s4, -v45
	v_add_f32_e32 v21, v39, v43
	v_add_f32_e32 v12, v12, v37
	;; [unrolled: 1-line block ×3, first 2 shown]
	v_fma_f32 v20, v46, s3, -v56
	v_add_f32_e32 v21, v21, v33
	v_add_f32_e32 v12, v12, v38
	v_fmac_f32_e32 v40, 0xbe903f40, v29
	v_add_f32_e32 v13, v13, v20
	v_fma_f32 v20, v57, s2, -v59
	v_add_f32_e32 v14, v21, v14
	v_add_f32_e32 v20, v13, v20
	;; [unrolled: 1-line block ×3, first 2 shown]
	v_fma_f32 v12, v60, s1, -v62
	v_add_f32_e32 v14, v14, v16
	v_add_f32_e32 v12, v20, v12
	;; [unrolled: 1-line block ×6, first 2 shown]
	v_fma_f32 v16, v22, s1, -v63
	v_add_f32_e32 v20, v20, v50
	v_add_f32_e32 v14, v17, v14
	;; [unrolled: 1-line block ×3, first 2 shown]
	v_fma_f32 v17, v23, s0, -v64
	v_add_f32_e32 v20, v20, v52
	v_add_f32_e32 v16, v16, v17
	v_fma_f32 v17, v25, s2, -v65
	v_mov_b32_e32 v98, v97
	v_add_f32_e32 v20, v20, v54
	v_add_f32_e32 v16, v16, v17
	v_fma_f32 v17, v26, s4, -v66
	v_fmac_f32_e32 v67, 0xbf75a155, v30
	v_fmac_f32_e32 v98, 0xbe11bafb, v26
	v_add_f32_e32 v20, v53, v20
	v_add_f32_e32 v16, v16, v17
	v_add_f32_e32 v17, v67, v43
	v_fmac_f32_e32 v68, 0x3f575c64, v42
	v_add_f32_e32 v94, v94, v98
	v_mul_f32_e32 v98, 0xbf68dda4, v10
	v_add_f32_e32 v20, v51, v20
	v_add_f32_e32 v17, v17, v68
	v_fmac_f32_e32 v69, 0xbf27a4f4, v46
	v_fma_f32 v10, v30, s4, -v98
	v_mul_f32_e32 v99, 0xbf4178ce, v11
	v_add_f32_e32 v20, v49, v20
	v_add_f32_e32 v17, v17, v69
	v_fmac_f32_e32 v70, 0x3ed4b147, v57
	v_add_f32_e32 v10, v10, v43
	v_fma_f32 v11, v42, s2, -v99
	v_mul_f32_e32 v55, 0x3e903f40, v55
	v_add_f32_e32 v20, v47, v20
	v_add_f32_e32 v18, v17, v70
	v_fma_f32 v17, v27, s3, -v71
	v_fmac_f32_e32 v72, 0xbe11bafb, v60
	v_add_f32_e32 v10, v10, v11
	v_fma_f32 v11, v46, s1, -v55
	v_mul_f32_e32 v58, 0x3f7d64f0, v58
	v_add_f32_e32 v14, v15, v14
	v_add_f32_e32 v15, v35, v20
	;; [unrolled: 1-line block ×4, first 2 shown]
	v_fma_f32 v18, v22, s2, -v73
	v_fma_f32 v20, v22, s3, -v83
	;; [unrolled: 1-line block ×3, first 2 shown]
	v_add_f32_e32 v10, v10, v11
	v_fma_f32 v11, v57, s3, -v58
	v_mul_f32_e32 v100, 0x3f0a6770, v29
	v_fma_f32 v19, v23, s3, -v74
	v_fma_f32 v21, v23, s1, -v84
	v_add_f32_e32 v22, v22, v44
	v_fma_f32 v23, v23, s2, -v95
	v_add_f32_e32 v10, v10, v11
	v_mov_b32_e32 v11, v100
	v_add_f32_e32 v18, v18, v44
	v_add_f32_e32 v20, v20, v44
	v_add_f32_e32 v22, v22, v23
	v_fma_f32 v23, v25, s1, -v96
	v_fmac_f32_e32 v11, 0x3f575c64, v27
	v_mul_f32_e32 v61, 0x3f0a6770, v61
	v_add_f32_e32 v18, v18, v19
	v_fma_f32 v19, v25, s0, -v75
	v_add_f32_e32 v20, v20, v21
	v_fma_f32 v21, v25, s4, -v85
	v_add_f32_e32 v22, v22, v23
	v_fma_f32 v23, v26, s3, -v97
	v_add_f32_e32 v11, v94, v11
	v_fma_f32 v94, v60, s0, -v61
	v_add_f32_e32 v14, v24, v14
	v_add_f32_e32 v18, v18, v19
	v_fma_f32 v19, v26, s1, -v76
	v_add_f32_e32 v20, v20, v21
	v_fma_f32 v21, v26, s0, -v86
	;; [unrolled: 2-line block ×3, first 2 shown]
	v_mad_u64_u32 v[24:25], s[0:1], s12, v28, 0
	v_fmac_f32_e32 v98, 0x3ed4b147, v30
	v_add_f32_e32 v23, v22, v23
	v_add_f32_e32 v22, v98, v43
	v_fmac_f32_e32 v99, 0xbf27a4f4, v42
	v_add_f32_e32 v22, v22, v99
	v_fmac_f32_e32 v55, 0xbf75a155, v46
	v_add_f32_e32 v18, v18, v19
	v_fma_f32 v19, v27, s4, -v81
	v_add_f32_e32 v20, v20, v21
	v_fma_f32 v21, v27, s2, -v92
	v_add_f32_e32 v27, v22, v55
	v_mov_b32_e32 v22, v25
	v_mad_u64_u32 v[25:26], s[0:1], s13, v28, v[22:23]
	v_mov_b32_e32 v26, s15
	v_add_co_u32_e32 v29, vcc, s14, v8
	v_fmac_f32_e32 v77, 0xbf27a4f4, v30
	v_fmac_f32_e32 v87, 0xbe11bafb, v30
	v_addc_co_u32_e32 v30, vcc, v26, v9, vcc
	v_add_u32_e32 v26, 22, v28
	v_lshlrev_b64 v[8:9], 3, v[24:25]
	v_mad_u64_u32 v[24:25], s[0:1], s12, v26, 0
	v_fmac_f32_e32 v58, 0xbe11bafb, v57
	v_add_u32_e32 v31, 44, v28
	v_mad_u64_u32 v[25:26], s[0:1], s13, v26, v[25:26]
	v_add_f32_e32 v22, v27, v58
	v_mad_u64_u32 v[26:27], s[0:1], s12, v31, 0
	v_add_co_u32_e32 v8, vcc, v29, v8
	v_add_f32_e32 v14, v34, v14
	v_addc_co_u32_e32 v9, vcc, v30, v9, vcc
	global_store_dwordx2 v[8:9], v[14:15], off
	v_mov_b32_e32 v14, v27
	v_mad_u64_u32 v[14:15], s[0:1], s13, v31, v[14:15]
	v_lshlrev_b64 v[8:9], 3, v[24:25]
	v_add_u32_e32 v24, 0x58, v28
	v_add_co_u32_e32 v8, vcc, v29, v8
	v_addc_co_u32_e32 v9, vcc, v30, v9, vcc
	v_mov_b32_e32 v27, v14
	v_add_u32_e32 v14, 0x42, v28
	global_store_dwordx2 v[8:9], v[12:13], off
	v_mad_u64_u32 v[12:13], s[0:1], s12, v14, 0
	v_lshlrev_b64 v[8:9], 3, v[26:27]
	v_add_f32_e32 v10, v10, v94
	v_mad_u64_u32 v[13:14], s[0:1], s13, v14, v[13:14]
	v_mad_u64_u32 v[14:15], s[0:1], s12, v24, 0
	v_add_co_u32_e32 v8, vcc, v29, v8
	v_addc_co_u32_e32 v9, vcc, v30, v9, vcc
	global_store_dwordx2 v[8:9], v[10:11], off
	v_mov_b32_e32 v10, v15
	v_mad_u64_u32 v[10:11], s[0:1], s13, v24, v[10:11]
	v_lshlrev_b64 v[8:9], 3, v[12:13]
	v_add_u32_e32 v12, 0x84, v28
	v_add_co_u32_e32 v8, vcc, v29, v8
	v_addc_co_u32_e32 v9, vcc, v30, v9, vcc
	v_mov_b32_e32 v15, v10
	v_add_u32_e32 v10, 0x6e, v28
	global_store_dwordx2 v[8:9], v[6:7], off
	v_mad_u64_u32 v[8:9], s[0:1], s12, v10, 0
	v_lshlrev_b64 v[6:7], 3, v[14:15]
	v_add_f32_e32 v19, v18, v19
	v_mad_u64_u32 v[9:10], s[0:1], s13, v10, v[9:10]
	v_mad_u64_u32 v[10:11], s[0:1], s12, v12, 0
	v_add_co_u32_e32 v6, vcc, v29, v6
	;; [unrolled: 17-line block ×3, first 2 shown]
	v_addc_co_u32_e32 v3, vcc, v30, v3, vcc
	global_store_dwordx2 v[2:3], v[16:17], off
	v_lshlrev_b64 v[2:3], 3, v[4:5]
	v_mov_b32_e32 v4, v7
	v_fmac_f32_e32 v78, 0xbe11bafb, v42
	v_mad_u64_u32 v[4:5], s[0:1], s13, v8, v[4:5]
	v_add_f32_e32 v18, v18, v78
	v_fmac_f32_e32 v79, 0x3f575c64, v46
	v_add_f32_e32 v18, v18, v79
	v_fmac_f32_e32 v80, 0xbf75a155, v57
	;; [unrolled: 2-line block ×3, first 2 shown]
	v_add_co_u32_e32 v2, vcc, v29, v2
	v_add_f32_e32 v18, v18, v82
	v_addc_co_u32_e32 v3, vcc, v30, v3, vcc
	v_mov_b32_e32 v7, v4
	global_store_dwordx2 v[2:3], v[18:19], off
	v_lshlrev_b64 v[2:3], 3, v[6:7]
	v_add_u32_e32 v6, 0xc6, v28
	v_mad_u64_u32 v[4:5], s[0:1], s12, v6, 0
	v_add_f32_e32 v21, v20, v21
	v_add_f32_e32 v20, v87, v43
	v_fmac_f32_e32 v88, 0xbf75a155, v42
	v_mad_u64_u32 v[5:6], s[0:1], s13, v6, v[5:6]
	v_add_u32_e32 v8, 0xdc, v28
	v_add_f32_e32 v20, v20, v88
	v_fmac_f32_e32 v89, 0x3ed4b147, v46
	v_mad_u64_u32 v[6:7], s[0:1], s12, v8, 0
	v_add_f32_e32 v20, v20, v89
	v_fmac_f32_e32 v90, 0x3f575c64, v57
	v_add_f32_e32 v20, v20, v90
	v_fmac_f32_e32 v93, 0xbf27a4f4, v60
	v_add_co_u32_e32 v2, vcc, v29, v2
	v_add_f32_e32 v20, v20, v93
	v_addc_co_u32_e32 v3, vcc, v30, v3, vcc
	global_store_dwordx2 v[2:3], v[20:21], off
	v_lshlrev_b64 v[2:3], 3, v[4:5]
	v_mov_b32_e32 v4, v7
	v_mad_u64_u32 v[4:5], s[0:1], s13, v8, v[4:5]
	v_fmac_f32_e32 v61, 0x3f575c64, v60
	v_add_co_u32_e32 v2, vcc, v29, v2
	v_add_f32_e32 v22, v22, v61
	v_addc_co_u32_e32 v3, vcc, v30, v3, vcc
	v_mov_b32_e32 v7, v4
	global_store_dwordx2 v[2:3], v[22:23], off
	v_lshlrev_b64 v[2:3], 3, v[6:7]
	v_add_co_u32_e32 v2, vcc, v29, v2
	v_addc_co_u32_e32 v3, vcc, v30, v3, vcc
	global_store_dwordx2 v[2:3], v[0:1], off
.LBB0_18:
	s_endpgm
	.section	.rodata,"a",@progbits
	.p2align	6, 0x0
	.amdhsa_kernel fft_rtc_fwd_len242_factors_11_2_11_wgs_110_tpt_22_sp_ip_CI_sbrr_dirReg
		.amdhsa_group_segment_fixed_size 0
		.amdhsa_private_segment_fixed_size 0
		.amdhsa_kernarg_size 88
		.amdhsa_user_sgpr_count 6
		.amdhsa_user_sgpr_private_segment_buffer 1
		.amdhsa_user_sgpr_dispatch_ptr 0
		.amdhsa_user_sgpr_queue_ptr 0
		.amdhsa_user_sgpr_kernarg_segment_ptr 1
		.amdhsa_user_sgpr_dispatch_id 0
		.amdhsa_user_sgpr_flat_scratch_init 0
		.amdhsa_user_sgpr_private_segment_size 0
		.amdhsa_uses_dynamic_stack 0
		.amdhsa_system_sgpr_private_segment_wavefront_offset 0
		.amdhsa_system_sgpr_workgroup_id_x 1
		.amdhsa_system_sgpr_workgroup_id_y 0
		.amdhsa_system_sgpr_workgroup_id_z 0
		.amdhsa_system_sgpr_workgroup_info 0
		.amdhsa_system_vgpr_workitem_id 0
		.amdhsa_next_free_vgpr 101
		.amdhsa_next_free_sgpr 24
		.amdhsa_reserve_vcc 1
		.amdhsa_reserve_flat_scratch 0
		.amdhsa_float_round_mode_32 0
		.amdhsa_float_round_mode_16_64 0
		.amdhsa_float_denorm_mode_32 3
		.amdhsa_float_denorm_mode_16_64 3
		.amdhsa_dx10_clamp 1
		.amdhsa_ieee_mode 1
		.amdhsa_fp16_overflow 0
		.amdhsa_exception_fp_ieee_invalid_op 0
		.amdhsa_exception_fp_denorm_src 0
		.amdhsa_exception_fp_ieee_div_zero 0
		.amdhsa_exception_fp_ieee_overflow 0
		.amdhsa_exception_fp_ieee_underflow 0
		.amdhsa_exception_fp_ieee_inexact 0
		.amdhsa_exception_int_div_zero 0
	.end_amdhsa_kernel
	.text
.Lfunc_end0:
	.size	fft_rtc_fwd_len242_factors_11_2_11_wgs_110_tpt_22_sp_ip_CI_sbrr_dirReg, .Lfunc_end0-fft_rtc_fwd_len242_factors_11_2_11_wgs_110_tpt_22_sp_ip_CI_sbrr_dirReg
                                        ; -- End function
	.section	.AMDGPU.csdata,"",@progbits
; Kernel info:
; codeLenInByte = 7940
; NumSgprs: 28
; NumVgprs: 101
; ScratchSize: 0
; MemoryBound: 0
; FloatMode: 240
; IeeeMode: 1
; LDSByteSize: 0 bytes/workgroup (compile time only)
; SGPRBlocks: 3
; VGPRBlocks: 25
; NumSGPRsForWavesPerEU: 28
; NumVGPRsForWavesPerEU: 101
; Occupancy: 2
; WaveLimiterHint : 1
; COMPUTE_PGM_RSRC2:SCRATCH_EN: 0
; COMPUTE_PGM_RSRC2:USER_SGPR: 6
; COMPUTE_PGM_RSRC2:TRAP_HANDLER: 0
; COMPUTE_PGM_RSRC2:TGID_X_EN: 1
; COMPUTE_PGM_RSRC2:TGID_Y_EN: 0
; COMPUTE_PGM_RSRC2:TGID_Z_EN: 0
; COMPUTE_PGM_RSRC2:TIDIG_COMP_CNT: 0
	.type	__hip_cuid_e6218ec51f3be02e,@object ; @__hip_cuid_e6218ec51f3be02e
	.section	.bss,"aw",@nobits
	.globl	__hip_cuid_e6218ec51f3be02e
__hip_cuid_e6218ec51f3be02e:
	.byte	0                               ; 0x0
	.size	__hip_cuid_e6218ec51f3be02e, 1

	.ident	"AMD clang version 19.0.0git (https://github.com/RadeonOpenCompute/llvm-project roc-6.4.0 25133 c7fe45cf4b819c5991fe208aaa96edf142730f1d)"
	.section	".note.GNU-stack","",@progbits
	.addrsig
	.addrsig_sym __hip_cuid_e6218ec51f3be02e
	.amdgpu_metadata
---
amdhsa.kernels:
  - .args:
      - .actual_access:  read_only
        .address_space:  global
        .offset:         0
        .size:           8
        .value_kind:     global_buffer
      - .offset:         8
        .size:           8
        .value_kind:     by_value
      - .actual_access:  read_only
        .address_space:  global
        .offset:         16
        .size:           8
        .value_kind:     global_buffer
      - .actual_access:  read_only
        .address_space:  global
        .offset:         24
        .size:           8
        .value_kind:     global_buffer
      - .offset:         32
        .size:           8
        .value_kind:     by_value
      - .actual_access:  read_only
        .address_space:  global
        .offset:         40
        .size:           8
        .value_kind:     global_buffer
      - .actual_access:  read_only
        .address_space:  global
        .offset:         48
        .size:           8
        .value_kind:     global_buffer
      - .offset:         56
        .size:           4
        .value_kind:     by_value
      - .actual_access:  read_only
        .address_space:  global
        .offset:         64
        .size:           8
        .value_kind:     global_buffer
      - .actual_access:  read_only
        .address_space:  global
        .offset:         72
        .size:           8
        .value_kind:     global_buffer
      - .address_space:  global
        .offset:         80
        .size:           8
        .value_kind:     global_buffer
    .group_segment_fixed_size: 0
    .kernarg_segment_align: 8
    .kernarg_segment_size: 88
    .language:       OpenCL C
    .language_version:
      - 2
      - 0
    .max_flat_workgroup_size: 110
    .name:           fft_rtc_fwd_len242_factors_11_2_11_wgs_110_tpt_22_sp_ip_CI_sbrr_dirReg
    .private_segment_fixed_size: 0
    .sgpr_count:     28
    .sgpr_spill_count: 0
    .symbol:         fft_rtc_fwd_len242_factors_11_2_11_wgs_110_tpt_22_sp_ip_CI_sbrr_dirReg.kd
    .uniform_work_group_size: 1
    .uses_dynamic_stack: false
    .vgpr_count:     101
    .vgpr_spill_count: 0
    .wavefront_size: 64
amdhsa.target:   amdgcn-amd-amdhsa--gfx906
amdhsa.version:
  - 1
  - 2
...

	.end_amdgpu_metadata
